;; amdgpu-corpus repo=llvm/llvm-project kind=harvested arch=n/a opt=n/a
// NOTE: Assertions have been autogenerated by utils/update_mc_test_checks.py UTC_ARGS: --unique --sort --version 6
// RUN: not llvm-mc -triple=amdgcn-amd-amdhsa -mcpu=gfx12-5-generic %s -filetype=null 2>&1 | FileCheck --implicit-check-not=error: %s

v_mqsad_pk_u16_u8 v[0:1], v[2:3], v4, v[6:7]
// CHECK: :[[@LINE-1]]:1: error: instruction not supported on this GPU (gfx12-5-generic): v_mqsad_pk_u16_u8

v_mqsad_u32_u8 v[0:3], s[2:3], v4, v[0:3]
// CHECK: :[[@LINE-1]]:1: error: instruction not supported on this GPU (gfx12-5-generic): v_mqsad_u32_u8

v_msad_u8 v0, v1, v2, v3
// CHECK: :[[@LINE-1]]:1: error: instruction not supported on this GPU (gfx12-5-generic): v_msad_u8
